;; amdgpu-corpus repo=ROCm/rocFFT kind=compiled arch=gfx1030 opt=O3
	.text
	.amdgcn_target "amdgcn-amd-amdhsa--gfx1030"
	.amdhsa_code_object_version 6
	.protected	fft_rtc_fwd_len540_factors_3_10_6_3_wgs_216_tpt_54_halfLds_sp_op_CI_CI_unitstride_sbrr_dirReg ; -- Begin function fft_rtc_fwd_len540_factors_3_10_6_3_wgs_216_tpt_54_halfLds_sp_op_CI_CI_unitstride_sbrr_dirReg
	.globl	fft_rtc_fwd_len540_factors_3_10_6_3_wgs_216_tpt_54_halfLds_sp_op_CI_CI_unitstride_sbrr_dirReg
	.p2align	8
	.type	fft_rtc_fwd_len540_factors_3_10_6_3_wgs_216_tpt_54_halfLds_sp_op_CI_CI_unitstride_sbrr_dirReg,@function
fft_rtc_fwd_len540_factors_3_10_6_3_wgs_216_tpt_54_halfLds_sp_op_CI_CI_unitstride_sbrr_dirReg: ; @fft_rtc_fwd_len540_factors_3_10_6_3_wgs_216_tpt_54_halfLds_sp_op_CI_CI_unitstride_sbrr_dirReg
; %bb.0:
	s_clause 0x2
	s_load_dwordx4 s[8:11], s[4:5], 0x0
	s_load_dwordx4 s[12:15], s[4:5], 0x58
	;; [unrolled: 1-line block ×3, first 2 shown]
	v_mul_u32_u24_e32 v1, 0x4be, v0
	v_mov_b32_e32 v7, 0
	v_mov_b32_e32 v5, 0
	;; [unrolled: 1-line block ×3, first 2 shown]
	v_lshrrev_b32_e32 v35, 16, v1
	v_mov_b32_e32 v10, v7
	v_lshl_add_u32 v9, s6, 2, v35
	s_waitcnt lgkmcnt(0)
	v_cmp_lt_u64_e64 s0, s[10:11], 2
	s_and_b32 vcc_lo, exec_lo, s0
	s_cbranch_vccnz .LBB0_8
; %bb.1:
	s_load_dwordx2 s[0:1], s[4:5], 0x10
	v_mov_b32_e32 v5, 0
	v_mov_b32_e32 v6, 0
	s_add_u32 s2, s18, 8
	s_addc_u32 s3, s19, 0
	v_mov_b32_e32 v1, v5
	s_add_u32 s6, s16, 8
	v_mov_b32_e32 v2, v6
	s_addc_u32 s7, s17, 0
	s_mov_b64 s[22:23], 1
	s_waitcnt lgkmcnt(0)
	s_add_u32 s20, s0, 8
	s_addc_u32 s21, s1, 0
.LBB0_2:                                ; =>This Inner Loop Header: Depth=1
	s_load_dwordx2 s[24:25], s[20:21], 0x0
                                        ; implicit-def: $vgpr3_vgpr4
	s_mov_b32 s0, exec_lo
	s_waitcnt lgkmcnt(0)
	v_or_b32_e32 v8, s25, v10
	v_cmpx_ne_u64_e32 0, v[7:8]
	s_xor_b32 s1, exec_lo, s0
	s_cbranch_execz .LBB0_4
; %bb.3:                                ;   in Loop: Header=BB0_2 Depth=1
	v_cvt_f32_u32_e32 v3, s24
	v_cvt_f32_u32_e32 v4, s25
	s_sub_u32 s0, 0, s24
	s_subb_u32 s26, 0, s25
	v_fmac_f32_e32 v3, 0x4f800000, v4
	v_rcp_f32_e32 v3, v3
	v_mul_f32_e32 v3, 0x5f7ffffc, v3
	v_mul_f32_e32 v4, 0x2f800000, v3
	v_trunc_f32_e32 v4, v4
	v_fmac_f32_e32 v3, 0xcf800000, v4
	v_cvt_u32_f32_e32 v4, v4
	v_cvt_u32_f32_e32 v3, v3
	v_mul_lo_u32 v8, s0, v4
	v_mul_hi_u32 v11, s0, v3
	v_mul_lo_u32 v12, s26, v3
	v_add_nc_u32_e32 v8, v11, v8
	v_mul_lo_u32 v11, s0, v3
	v_add_nc_u32_e32 v8, v8, v12
	v_mul_hi_u32 v12, v3, v11
	v_mul_lo_u32 v13, v3, v8
	v_mul_hi_u32 v14, v3, v8
	v_mul_hi_u32 v15, v4, v11
	v_mul_lo_u32 v11, v4, v11
	v_mul_hi_u32 v16, v4, v8
	v_mul_lo_u32 v8, v4, v8
	v_add_co_u32 v12, vcc_lo, v12, v13
	v_add_co_ci_u32_e32 v13, vcc_lo, 0, v14, vcc_lo
	v_add_co_u32 v11, vcc_lo, v12, v11
	v_add_co_ci_u32_e32 v11, vcc_lo, v13, v15, vcc_lo
	v_add_co_ci_u32_e32 v12, vcc_lo, 0, v16, vcc_lo
	v_add_co_u32 v8, vcc_lo, v11, v8
	v_add_co_ci_u32_e32 v11, vcc_lo, 0, v12, vcc_lo
	v_add_co_u32 v3, vcc_lo, v3, v8
	v_add_co_ci_u32_e32 v4, vcc_lo, v4, v11, vcc_lo
	v_mul_hi_u32 v8, s0, v3
	v_mul_lo_u32 v12, s26, v3
	v_mul_lo_u32 v11, s0, v4
	v_add_nc_u32_e32 v8, v8, v11
	v_mul_lo_u32 v11, s0, v3
	v_add_nc_u32_e32 v8, v8, v12
	v_mul_hi_u32 v12, v3, v11
	v_mul_lo_u32 v13, v3, v8
	v_mul_hi_u32 v14, v3, v8
	v_mul_hi_u32 v15, v4, v11
	v_mul_lo_u32 v11, v4, v11
	v_mul_hi_u32 v16, v4, v8
	v_mul_lo_u32 v8, v4, v8
	v_add_co_u32 v12, vcc_lo, v12, v13
	v_add_co_ci_u32_e32 v13, vcc_lo, 0, v14, vcc_lo
	v_add_co_u32 v11, vcc_lo, v12, v11
	v_add_co_ci_u32_e32 v11, vcc_lo, v13, v15, vcc_lo
	v_add_co_ci_u32_e32 v12, vcc_lo, 0, v16, vcc_lo
	v_add_co_u32 v8, vcc_lo, v11, v8
	v_add_co_ci_u32_e32 v11, vcc_lo, 0, v12, vcc_lo
	v_add_co_u32 v8, vcc_lo, v3, v8
	v_add_co_ci_u32_e32 v13, vcc_lo, v4, v11, vcc_lo
	v_mul_hi_u32 v15, v9, v8
	v_mad_u64_u32 v[11:12], null, v10, v8, 0
	v_mad_u64_u32 v[3:4], null, v9, v13, 0
	v_mad_u64_u32 v[13:14], null, v10, v13, 0
	v_add_co_u32 v3, vcc_lo, v15, v3
	v_add_co_ci_u32_e32 v4, vcc_lo, 0, v4, vcc_lo
	v_add_co_u32 v3, vcc_lo, v3, v11
	v_add_co_ci_u32_e32 v3, vcc_lo, v4, v12, vcc_lo
	v_add_co_ci_u32_e32 v4, vcc_lo, 0, v14, vcc_lo
	v_add_co_u32 v8, vcc_lo, v3, v13
	v_add_co_ci_u32_e32 v11, vcc_lo, 0, v4, vcc_lo
	v_mul_lo_u32 v12, s25, v8
	v_mad_u64_u32 v[3:4], null, s24, v8, 0
	v_mul_lo_u32 v13, s24, v11
	v_sub_co_u32 v3, vcc_lo, v9, v3
	v_add3_u32 v4, v4, v13, v12
	v_sub_nc_u32_e32 v12, v10, v4
	v_subrev_co_ci_u32_e64 v12, s0, s25, v12, vcc_lo
	v_add_co_u32 v13, s0, v8, 2
	v_add_co_ci_u32_e64 v14, s0, 0, v11, s0
	v_sub_co_u32 v15, s0, v3, s24
	v_sub_co_ci_u32_e32 v4, vcc_lo, v10, v4, vcc_lo
	v_subrev_co_ci_u32_e64 v12, s0, 0, v12, s0
	v_cmp_le_u32_e32 vcc_lo, s24, v15
	v_cmp_eq_u32_e64 s0, s25, v4
	v_cndmask_b32_e64 v15, 0, -1, vcc_lo
	v_cmp_le_u32_e32 vcc_lo, s25, v12
	v_cndmask_b32_e64 v16, 0, -1, vcc_lo
	v_cmp_le_u32_e32 vcc_lo, s24, v3
	;; [unrolled: 2-line block ×3, first 2 shown]
	v_cndmask_b32_e64 v17, 0, -1, vcc_lo
	v_cmp_eq_u32_e32 vcc_lo, s25, v12
	v_cndmask_b32_e64 v3, v17, v3, s0
	v_cndmask_b32_e32 v12, v16, v15, vcc_lo
	v_add_co_u32 v15, vcc_lo, v8, 1
	v_add_co_ci_u32_e32 v16, vcc_lo, 0, v11, vcc_lo
	v_cmp_ne_u32_e32 vcc_lo, 0, v12
	v_cndmask_b32_e32 v4, v16, v14, vcc_lo
	v_cndmask_b32_e32 v12, v15, v13, vcc_lo
	v_cmp_ne_u32_e32 vcc_lo, 0, v3
	v_cndmask_b32_e32 v4, v11, v4, vcc_lo
	v_cndmask_b32_e32 v3, v8, v12, vcc_lo
.LBB0_4:                                ;   in Loop: Header=BB0_2 Depth=1
	s_andn2_saveexec_b32 s0, s1
	s_cbranch_execz .LBB0_6
; %bb.5:                                ;   in Loop: Header=BB0_2 Depth=1
	v_cvt_f32_u32_e32 v3, s24
	s_sub_i32 s1, 0, s24
	v_rcp_iflag_f32_e32 v3, v3
	v_mul_f32_e32 v3, 0x4f7ffffe, v3
	v_cvt_u32_f32_e32 v3, v3
	v_mul_lo_u32 v4, s1, v3
	v_mul_hi_u32 v4, v3, v4
	v_add_nc_u32_e32 v3, v3, v4
	v_mul_hi_u32 v3, v9, v3
	v_mul_lo_u32 v4, v3, s24
	v_add_nc_u32_e32 v8, 1, v3
	v_sub_nc_u32_e32 v4, v9, v4
	v_subrev_nc_u32_e32 v11, s24, v4
	v_cmp_le_u32_e32 vcc_lo, s24, v4
	v_cndmask_b32_e32 v4, v4, v11, vcc_lo
	v_cndmask_b32_e32 v3, v3, v8, vcc_lo
	v_cmp_le_u32_e32 vcc_lo, s24, v4
	v_add_nc_u32_e32 v8, 1, v3
	v_mov_b32_e32 v4, v7
	v_cndmask_b32_e32 v3, v3, v8, vcc_lo
.LBB0_6:                                ;   in Loop: Header=BB0_2 Depth=1
	s_or_b32 exec_lo, exec_lo, s0
	v_mul_lo_u32 v8, v4, s24
	v_mul_lo_u32 v13, v3, s25
	s_load_dwordx2 s[0:1], s[6:7], 0x0
	v_mad_u64_u32 v[11:12], null, v3, s24, 0
	s_load_dwordx2 s[24:25], s[2:3], 0x0
	s_add_u32 s22, s22, 1
	s_addc_u32 s23, s23, 0
	s_add_u32 s2, s2, 8
	s_addc_u32 s3, s3, 0
	s_add_u32 s6, s6, 8
	v_add3_u32 v8, v12, v13, v8
	v_sub_co_u32 v9, vcc_lo, v9, v11
	s_addc_u32 s7, s7, 0
	s_add_u32 s20, s20, 8
	v_sub_co_ci_u32_e32 v8, vcc_lo, v10, v8, vcc_lo
	s_addc_u32 s21, s21, 0
	s_waitcnt lgkmcnt(0)
	v_mul_lo_u32 v10, s0, v8
	v_mul_lo_u32 v11, s1, v9
	v_mad_u64_u32 v[5:6], null, s0, v9, v[5:6]
	v_mul_lo_u32 v8, s24, v8
	v_mul_lo_u32 v12, s25, v9
	v_mad_u64_u32 v[1:2], null, s24, v9, v[1:2]
	v_cmp_ge_u64_e64 s0, s[22:23], s[10:11]
	v_add3_u32 v6, v11, v6, v10
	v_add3_u32 v2, v12, v2, v8
	s_and_b32 vcc_lo, exec_lo, s0
	s_cbranch_vccnz .LBB0_9
; %bb.7:                                ;   in Loop: Header=BB0_2 Depth=1
	v_mov_b32_e32 v10, v4
	v_mov_b32_e32 v9, v3
	s_branch .LBB0_2
.LBB0_8:
	v_mov_b32_e32 v1, v5
	v_mov_b32_e32 v3, v9
	;; [unrolled: 1-line block ×4, first 2 shown]
.LBB0_9:
	s_load_dwordx2 s[2:3], s[4:5], 0x28
	v_mul_hi_u32 v7, 0x4bda130, v0
                                        ; implicit-def: $vgpr34
	s_waitcnt lgkmcnt(0)
	v_cmp_gt_u64_e64 s0, s[2:3], v[3:4]
	v_cmp_le_u64_e32 vcc_lo, s[2:3], v[3:4]
	s_lshl_b64 s[2:3], s[10:11], 3
	s_add_u32 s4, s18, s2
	s_addc_u32 s5, s19, s3
	s_and_saveexec_b32 s1, vcc_lo
	s_xor_b32 s1, exec_lo, s1
; %bb.10:
	v_mul_u32_u24_e32 v5, 54, v7
                                        ; implicit-def: $vgpr7
	v_sub_nc_u32_e32 v34, v0, v5
                                        ; implicit-def: $vgpr0
                                        ; implicit-def: $vgpr5_vgpr6
; %bb.11:
	s_or_saveexec_b32 s1, s1
	s_load_dwordx2 s[4:5], s[4:5], 0x0
                                        ; implicit-def: $vgpr21
                                        ; implicit-def: $vgpr17
                                        ; implicit-def: $vgpr15
                                        ; implicit-def: $vgpr27
                                        ; implicit-def: $vgpr31
                                        ; implicit-def: $vgpr9
                                        ; implicit-def: $vgpr19
                                        ; implicit-def: $vgpr23
                                        ; implicit-def: $vgpr11
                                        ; implicit-def: $vgpr25
                                        ; implicit-def: $vgpr29
                                        ; implicit-def: $vgpr13
	s_xor_b32 exec_lo, exec_lo, s1
	s_cbranch_execz .LBB0_15
; %bb.12:
	s_add_u32 s2, s16, s2
	s_addc_u32 s3, s17, s3
	v_lshlrev_b64 v[5:6], 3, v[5:6]
	s_load_dwordx2 s[2:3], s[2:3], 0x0
                                        ; implicit-def: $vgpr14
                                        ; implicit-def: $vgpr16
                                        ; implicit-def: $vgpr20
	s_waitcnt lgkmcnt(0)
	v_mul_lo_u32 v10, s3, v3
	v_mul_lo_u32 v11, s2, v4
	v_mad_u64_u32 v[8:9], null, s2, v3, 0
	s_mov_b32 s2, exec_lo
	v_add3_u32 v9, v9, v11, v10
	v_mul_u32_u24_e32 v10, 54, v7
	v_lshlrev_b64 v[7:8], 3, v[8:9]
	v_sub_nc_u32_e32 v34, v0, v10
	v_add_co_u32 v0, vcc_lo, s12, v7
	v_add_co_ci_u32_e32 v7, vcc_lo, s13, v8, vcc_lo
	v_lshlrev_b32_e32 v8, 3, v34
	v_add_co_u32 v0, vcc_lo, v0, v5
	v_add_co_ci_u32_e32 v6, vcc_lo, v7, v6, vcc_lo
	v_add_co_u32 v5, vcc_lo, v0, v8
	v_add_co_ci_u32_e32 v6, vcc_lo, 0, v6, vcc_lo
	;; [unrolled: 2-line block ×3, first 2 shown]
	s_clause 0x8
	global_load_dwordx2 v[12:13], v[5:6], off
	global_load_dwordx2 v[10:11], v[5:6], off offset:432
	global_load_dwordx2 v[22:23], v[5:6], off offset:1872
	;; [unrolled: 1-line block ×8, first 2 shown]
	v_cmpx_gt_u32_e32 18, v34
; %bb.13:
	v_add_co_u32 v20, vcc_lo, 0x1000, v5
	v_add_co_ci_u32_e32 v21, vcc_lo, 0, v6, vcc_lo
	s_clause 0x2
	global_load_dwordx2 v[14:15], v[5:6], off offset:1296
	global_load_dwordx2 v[16:17], v[32:33], off offset:688
	;; [unrolled: 1-line block ×3, first 2 shown]
; %bb.14:
	s_or_b32 exec_lo, exec_lo, s2
.LBB0_15:
	s_or_b32 exec_lo, exec_lo, s1
	v_and_b32_e32 v0, 3, v35
	s_waitcnt vmcnt(2)
	v_add_f32_e32 v5, v24, v28
	v_add_f32_e32 v6, v28, v12
	;; [unrolled: 1-line block ×3, first 2 shown]
	s_waitcnt vmcnt(0)
	v_sub_f32_e32 v41, v17, v21
	v_mul_u32_u24_e32 v7, 0x21c, v0
	v_fmac_f32_e32 v12, -0.5, v5
	v_sub_f32_e32 v0, v29, v25
	v_add_f32_e32 v35, v24, v6
	v_add_f32_e32 v5, v22, v10
	v_fmac_f32_e32 v10, -0.5, v32
	v_sub_f32_e32 v6, v23, v19
	v_fmamk_f32 v36, v0, 0x3f5db3d7, v12
	v_fmac_f32_e32 v12, 0xbf5db3d7, v0
	v_add_f32_e32 v0, v26, v30
	v_add_f32_e32 v37, v18, v5
	v_fmamk_f32 v38, v6, 0x3f5db3d7, v10
	v_fmac_f32_e32 v10, 0xbf5db3d7, v6
	v_add_f32_e32 v5, v30, v8
	v_fmac_f32_e32 v8, -0.5, v0
	v_add_f32_e32 v6, v20, v16
	v_mad_u32_u24 v32, v34, 12, 0
	v_lshlrev_b32_e32 v0, 2, v7
	v_sub_f32_e32 v39, v31, v27
	v_add_f32_e32 v40, v26, v5
	v_fma_f32 v6, -0.5, v6, v14
	v_cmp_gt_u32_e32 vcc_lo, 18, v34
	v_add_nc_u32_e32 v33, v32, v0
	v_add_nc_u32_e32 v32, 0x510, v32
	v_fmamk_f32 v42, v39, 0x3f5db3d7, v8
	v_fmamk_f32 v5, v41, 0x3f5db3d7, v6
	v_fmac_f32_e32 v6, 0xbf5db3d7, v41
	ds_write2_b32 v33, v35, v36 offset1:1
	v_add_nc_u32_e32 v35, v32, v0
	v_add_nc_u32_e32 v36, 0x288, v33
	v_fmac_f32_e32 v8, 0xbf5db3d7, v39
	ds_write2_b32 v33, v37, v38 offset0:162 offset1:163
	ds_write2_b32 v33, v12, v10 offset0:2 offset1:164
	ds_write2_b32 v35, v40, v42 offset1:1
	ds_write_b32 v35, v8 offset:8
	s_and_saveexec_b32 s1, vcc_lo
	s_cbranch_execz .LBB0_17
; %bb.16:
	v_add_f32_e32 v8, v16, v14
	v_lshl_add_u32 v7, v7, 2, v32
	v_add_f32_e32 v8, v20, v8
	ds_write2_b32 v7, v8, v5 offset0:162 offset1:163
	ds_write_b32 v7, v6 offset:656
.LBB0_17:
	s_or_b32 exec_lo, exec_lo, s1
	v_add_f32_e32 v7, v25, v29
	v_add_f32_e32 v8, v29, v13
	v_sub_f32_e32 v10, v28, v24
	v_add_f32_e32 v12, v19, v23
	v_sub_f32_e32 v37, v22, v18
	v_fmac_f32_e32 v13, -0.5, v7
	v_add_f32_e32 v7, v23, v11
	v_add_f32_e32 v38, v25, v8
	v_lshlrev_b32_e32 v8, 2, v34
	v_fmac_f32_e32 v11, -0.5, v12
	v_fmamk_f32 v39, v10, 0xbf5db3d7, v13
	v_fmac_f32_e32 v13, 0x3f5db3d7, v10
	v_add_f32_e32 v10, v27, v31
	v_add_f32_e32 v40, v19, v7
	;; [unrolled: 1-line block ×3, first 2 shown]
	v_add3_u32 v31, 0, v8, v0
	v_add3_u32 v32, 0, v0, v8
	v_fmac_f32_e32 v9, -0.5, v10
	s_waitcnt lgkmcnt(0)
	s_barrier
	v_add_nc_u32_e32 v14, 0x400, v31
	buffer_gl0_inv
	ds_read2_b32 v[28:29], v31 offset0:54 offset1:108
	ds_read2_b32 v[24:25], v31 offset0:162 offset1:216
	;; [unrolled: 1-line block ×4, first 2 shown]
	ds_read_b32 v12, v32
	ds_read_b32 v10, v31 offset:1944
	v_add_f32_e32 v42, v21, v17
	v_sub_f32_e32 v16, v16, v20
	v_sub_f32_e32 v26, v30, v26
	v_add_f32_e32 v20, v27, v7
	v_add_nc_u32_e32 v30, 0xa2, v34
	v_fma_f32 v8, -0.5, v42, v15
	v_fmamk_f32 v41, v37, 0xbf5db3d7, v11
	v_fmac_f32_e32 v11, 0x3f5db3d7, v37
	v_fmamk_f32 v27, v26, 0xbf5db3d7, v9
	v_fmac_f32_e32 v9, 0x3f5db3d7, v26
	;; [unrolled: 2-line block ×3, first 2 shown]
	s_waitcnt lgkmcnt(0)
	s_barrier
	buffer_gl0_inv
	ds_write2_b32 v33, v38, v39 offset1:1
	ds_write_b32 v33, v13 offset:8
	ds_write2_b32 v36, v40, v41 offset1:1
	ds_write_b32 v36, v11 offset:8
	;; [unrolled: 2-line block ×3, first 2 shown]
	s_and_saveexec_b32 s1, vcc_lo
	s_cbranch_execz .LBB0_19
; %bb.18:
	v_add_f32_e32 v9, v17, v15
	v_mul_u32_u24_e32 v11, 12, v30
	v_add_f32_e32 v9, v21, v9
	v_add3_u32 v11, 0, v11, v0
	ds_write2_b32 v11, v9, v7 offset1:1
	ds_write_b32 v11, v8 offset:8
.LBB0_19:
	s_or_b32 exec_lo, exec_lo, s1
	v_and_b32_e32 v9, 0xff, v34
	v_mov_b32_e32 v13, 9
	s_waitcnt lgkmcnt(0)
	s_barrier
	buffer_gl0_inv
	v_mul_lo_u16 v9, 0xab, v9
	v_cmp_gt_u32_e64 s1, 36, v34
	v_lshrrev_b16 v9, 9, v9
	v_mul_lo_u16 v11, v9, 3
	v_and_b32_e32 v9, 0xffff, v9
	v_sub_nc_u16 v11, v34, v11
	v_mad_u32_u24 v9, 0x78, v9, 0
	v_mul_u32_u24_sdwa v13, v11, v13 dst_sel:DWORD dst_unused:UNUSED_PAD src0_sel:BYTE_0 src1_sel:DWORD
	v_lshlrev_b32_e32 v13, 3, v13
	s_clause 0x4
	global_load_dwordx4 v[41:44], v13, s[8:9]
	global_load_dwordx4 v[45:48], v13, s[8:9] offset:16
	global_load_dwordx4 v[49:52], v13, s[8:9] offset:32
	;; [unrolled: 1-line block ×3, first 2 shown]
	global_load_dwordx2 v[57:58], v13, s[8:9] offset:64
	v_mov_b32_e32 v13, 2
	ds_read2_b32 v[59:60], v31 offset0:54 offset1:108
	ds_read2_b32 v[61:62], v31 offset0:162 offset1:216
	;; [unrolled: 1-line block ×3, first 2 shown]
	v_lshlrev_b32_sdwa v11, v13, v11 dst_sel:DWORD dst_unused:UNUSED_PAD src0_sel:DWORD src1_sel:BYTE_0
	ds_read2_b32 v[65:66], v14 offset0:122 offset1:176
	ds_read_b32 v20, v32
	ds_read_b32 v13, v31 offset:1944
	s_waitcnt vmcnt(0) lgkmcnt(0)
	s_barrier
	buffer_gl0_inv
	v_add3_u32 v21, v9, v11, v0
	v_mul_f32_e32 v9, v59, v42
	v_mul_f32_e32 v11, v60, v44
	;; [unrolled: 1-line block ×14, first 2 shown]
	v_fma_f32 v15, v28, v41, -v9
	v_mul_f32_e32 v9, v13, v58
	v_mul_f32_e32 v16, v10, v58
	;; [unrolled: 1-line block ×3, first 2 shown]
	v_fma_f32 v29, v29, v43, -v11
	v_fma_f32 v11, v24, v45, -v17
	v_fmac_f32_e32 v36, v61, v45
	v_fma_f32 v24, v25, v47, -v27
	v_fmac_f32_e32 v35, v63, v49
	;; [unrolled: 2-line block ×3, first 2 shown]
	v_fma_f32 v45, v19, v55, -v48
	v_fma_f32 v17, v22, v49, -v42
	;; [unrolled: 1-line block ×4, first 2 shown]
	v_fmac_f32_e32 v16, v13, v57
	v_mul_f32_e32 v40, v19, v56
	v_fmac_f32_e32 v26, v59, v41
	v_sub_f32_e32 v19, v29, v24
	v_sub_f32_e32 v22, v45, v23
	v_add_f32_e32 v53, v35, v33
	v_add_f32_e32 v13, v24, v23
	;; [unrolled: 1-line block ×6, first 2 shown]
	v_fmac_f32_e32 v37, v60, v43
	v_fmac_f32_e32 v39, v64, v51
	v_sub_f32_e32 v41, v24, v29
	v_sub_f32_e32 v42, v23, v45
	v_add_f32_e32 v43, v15, v11
	v_sub_f32_e32 v48, v11, v17
	v_sub_f32_e32 v51, v17, v11
	;; [unrolled: 1-line block ×3, first 2 shown]
	v_add_f32_e32 v60, v19, v22
	v_fma_f32 v22, -0.5, v53, v26
	v_fmac_f32_e32 v38, v62, v47
	v_add_f32_e32 v10, v12, v29
	v_sub_f32_e32 v47, v35, v33
	v_sub_f32_e32 v54, v17, v18
	v_fma_f32 v13, -0.5, v13, v12
	v_fmac_f32_e32 v12, -0.5, v28
	v_fma_f32 v19, -0.5, v44, v15
	v_fmac_f32_e32 v15, -0.5, v50
	v_fma_f32 v28, -0.5, v57, v26
	v_sub_f32_e32 v46, v36, v16
	v_fmac_f32_e32 v40, v66, v55
	v_sub_f32_e32 v55, v36, v35
	v_sub_f32_e32 v56, v16, v33
	v_add_f32_e32 v61, v41, v42
	v_fmamk_f32 v41, v11, 0xbf737871, v22
	v_sub_f32_e32 v49, v9, v18
	v_sub_f32_e32 v52, v18, v9
	;; [unrolled: 1-line block ×4, first 2 shown]
	v_add_f32_e32 v17, v43, v17
	v_fmamk_f32 v43, v47, 0xbf737871, v15
	v_fmac_f32_e32 v15, 0x3f737871, v47
	v_fmamk_f32 v42, v54, 0x3f737871, v28
	v_fmamk_f32 v44, v46, 0x3f737871, v19
	v_fmac_f32_e32 v19, 0xbf737871, v46
	v_sub_f32_e32 v25, v37, v40
	v_add_f32_e32 v50, v55, v56
	v_fmac_f32_e32 v41, 0xbf167918, v54
	v_sub_f32_e32 v27, v38, v39
	v_add_f32_e32 v48, v48, v49
	v_add_f32_e32 v49, v51, v52
	;; [unrolled: 1-line block ×3, first 2 shown]
	v_fmac_f32_e32 v28, 0xbf737871, v54
	v_fmac_f32_e32 v15, 0xbf167918, v46
	;; [unrolled: 1-line block ×5, first 2 shown]
	v_add_f32_e32 v10, v10, v24
	v_fmamk_f32 v52, v25, 0x3f737871, v13
	v_fmac_f32_e32 v44, 0x3f167918, v47
	v_fmac_f32_e32 v41, 0x3e9e377a, v50
	v_fmamk_f32 v53, v27, 0xbf737871, v12
	v_fmac_f32_e32 v12, 0x3f737871, v27
	v_add_f32_e32 v17, v17, v18
	v_fmac_f32_e32 v43, 0x3f167918, v46
	v_fmac_f32_e32 v28, 0x3f167918, v11
	;; [unrolled: 1-line block ×7, first 2 shown]
	v_add_f32_e32 v10, v10, v23
	v_fmac_f32_e32 v52, 0x3f167918, v27
	v_fmac_f32_e32 v44, 0x3e9e377a, v48
	v_mul_f32_e32 v11, 0x3f167918, v41
	v_fmac_f32_e32 v53, 0x3f167918, v25
	v_fmac_f32_e32 v12, 0xbf167918, v25
	v_add_f32_e32 v9, v17, v9
	v_fmac_f32_e32 v43, 0x3e9e377a, v49
	v_fmac_f32_e32 v28, 0x3e9e377a, v51
	v_mul_f32_e32 v17, 0x3f737871, v42
	v_mul_f32_e32 v18, 0x3e9e377a, v15
	v_fmac_f32_e32 v13, 0xbf167918, v27
	v_fmac_f32_e32 v22, 0x3e9e377a, v50
	v_mul_f32_e32 v25, 0x3f4f1bbd, v19
	v_add_f32_e32 v10, v10, v45
	v_fmac_f32_e32 v52, 0x3e9e377a, v60
	v_fmac_f32_e32 v11, 0x3f4f1bbd, v44
	;; [unrolled: 1-line block ×5, first 2 shown]
	v_fma_f32 v18, 0x3f737871, v28, -v18
	v_fmac_f32_e32 v13, 0x3e9e377a, v60
	v_fma_f32 v25, 0x3f167918, v22, -v25
	v_add_f32_e32 v27, v10, v9
	v_add_f32_e32 v47, v52, v11
	;; [unrolled: 1-line block ×4, first 2 shown]
	v_sub_f32_e32 v46, v10, v9
	v_add_f32_e32 v50, v13, v25
	v_sub_f32_e32 v9, v52, v11
	v_sub_f32_e32 v10, v53, v17
	;; [unrolled: 1-line block ×4, first 2 shown]
	ds_write2_b32 v21, v27, v47 offset1:3
	ds_write2_b32 v21, v48, v49 offset0:6 offset1:9
	ds_write2_b32 v21, v50, v46 offset0:12 offset1:15
	ds_write2_b32 v21, v9, v10 offset0:18 offset1:21
	ds_write2_b32 v21, v11, v12 offset0:24 offset1:27
	s_waitcnt lgkmcnt(0)
	s_barrier
	buffer_gl0_inv
	ds_read2_b32 v[17:18], v31 offset0:90 offset1:180
	ds_read2_b32 v[13:14], v14 offset0:14 offset1:104
	ds_read_b32 v25, v32
	ds_read_b32 v27, v31 offset:1800
	s_and_saveexec_b32 s2, s1
	s_cbranch_execz .LBB0_21
; %bb.20:
	v_add_nc_u32_e32 v5, 0x200, v31
	v_add_nc_u32_e32 v6, 0x400, v31
	ds_read2_b32 v[9:10], v31 offset0:54 offset1:144
	ds_read2_b32 v[11:12], v5 offset0:106 offset1:196
	;; [unrolled: 1-line block ×3, first 2 shown]
.LBB0_21:
	s_or_b32 exec_lo, exec_lo, s2
	v_add_f32_e32 v46, v20, v37
	v_add_f32_e32 v47, v38, v39
	;; [unrolled: 1-line block ×3, first 2 shown]
	v_sub_f32_e32 v29, v29, v45
	v_sub_f32_e32 v23, v24, v23
	v_add_f32_e32 v46, v46, v38
	v_fma_f32 v47, -0.5, v47, v20
	v_fmac_f32_e32 v20, -0.5, v48
	v_sub_f32_e32 v45, v37, v38
	v_sub_f32_e32 v37, v38, v37
	v_add_f32_e32 v24, v46, v39
	v_fmamk_f32 v46, v29, 0xbf737871, v47
	v_fmac_f32_e32 v47, 0x3f737871, v29
	v_fmamk_f32 v48, v23, 0x3f737871, v20
	v_sub_f32_e32 v38, v39, v40
	v_fmac_f32_e32 v20, 0xbf737871, v23
	v_add_f32_e32 v26, v26, v36
	v_sub_f32_e32 v49, v40, v39
	v_fmac_f32_e32 v46, 0xbf167918, v23
	v_fmac_f32_e32 v47, 0x3f167918, v23
	;; [unrolled: 1-line block ×3, first 2 shown]
	v_add_f32_e32 v23, v37, v38
	v_fmac_f32_e32 v20, 0x3f167918, v29
	v_add_f32_e32 v26, v26, v35
	v_add_f32_e32 v45, v45, v49
	v_mul_f32_e32 v29, 0xbf737871, v43
	v_fmac_f32_e32 v48, 0x3e9e377a, v23
	v_fmac_f32_e32 v20, 0x3e9e377a, v23
	v_add_f32_e32 v23, v26, v33
	v_mul_f32_e32 v26, 0xbf167918, v44
	v_mul_f32_e32 v28, 0x3e9e377a, v28
	;; [unrolled: 1-line block ×3, first 2 shown]
	v_add_f32_e32 v24, v24, v40
	v_fmac_f32_e32 v46, 0x3e9e377a, v45
	v_add_f32_e32 v16, v23, v16
	v_fmac_f32_e32 v26, 0x3f4f1bbd, v41
	v_fmac_f32_e32 v29, 0x3e9e377a, v42
	v_fma_f32 v23, 0xbf737871, v15, -v28
	v_fmac_f32_e32 v47, 0x3e9e377a, v45
	v_fma_f32 v22, 0xbf167918, v19, -v22
	v_add_f32_e32 v28, v24, v16
	v_add_f32_e32 v33, v46, v26
	;; [unrolled: 1-line block ×4, first 2 shown]
	v_sub_f32_e32 v24, v24, v16
	v_sub_f32_e32 v16, v48, v29
	v_add_nc_u32_e32 v29, 0x400, v31
	v_add_f32_e32 v37, v47, v22
	v_sub_f32_e32 v15, v46, v26
	v_sub_f32_e32 v19, v20, v23
	;; [unrolled: 1-line block ×3, first 2 shown]
	s_waitcnt lgkmcnt(0)
	s_barrier
	buffer_gl0_inv
	ds_write2_b32 v21, v28, v33 offset1:3
	ds_write2_b32 v21, v35, v36 offset0:6 offset1:9
	ds_write2_b32 v21, v37, v24 offset0:12 offset1:15
	ds_write2_b32 v21, v15, v16 offset0:18 offset1:21
	ds_write2_b32 v21, v19, v20 offset0:24 offset1:27
	s_waitcnt lgkmcnt(0)
	s_barrier
	buffer_gl0_inv
	ds_read2_b32 v[23:24], v31 offset0:90 offset1:180
	ds_read2_b32 v[21:22], v29 offset0:14 offset1:104
	ds_read_b32 v26, v32
	ds_read_b32 v28, v31 offset:1800
	s_and_saveexec_b32 s2, s1
	s_cbranch_execz .LBB0_23
; %bb.22:
	v_add_nc_u32_e32 v7, 0x200, v31
	ds_read2_b32 v[15:16], v31 offset0:54 offset1:144
	ds_read2_b32 v[19:20], v7 offset0:106 offset1:196
	;; [unrolled: 1-line block ×3, first 2 shown]
.LBB0_23:
	s_or_b32 exec_lo, exec_lo, s2
	v_subrev_nc_u32_e32 v29, 30, v34
	v_cmp_gt_u32_e64 s2, 30, v34
	v_mov_b32_e32 v36, 0
	v_cndmask_b32_e64 v33, v29, v34, s2
	v_add_nc_u32_e32 v29, 54, v34
	v_mul_i32_i24_e32 v35, 5, v33
	v_and_b32_e32 v37, 0xff, v29
	v_lshlrev_b32_e32 v33, 2, v33
	v_lshlrev_b64 v[35:36], 3, v[35:36]
	v_mul_lo_u16 v37, 0x89, v37
	v_lshrrev_b16 v63, 12, v37
	v_add_co_u32 v35, s2, s8, v35
	v_add_co_ci_u32_e64 v36, s2, s9, v36, s2
	v_mul_lo_u16 v37, v63, 30
	v_cmp_lt_u32_e64 s2, 29, v34
	s_clause 0x2
	global_load_dwordx4 v[43:46], v[35:36], off offset:216
	global_load_dwordx4 v[47:50], v[35:36], off offset:232
	global_load_dwordx2 v[59:60], v[35:36], off offset:248
	v_mov_b32_e32 v35, 5
	v_sub_nc_u16 v36, v29, v37
	v_mul_u32_u24_sdwa v35, v36, v35 dst_sel:DWORD dst_unused:UNUSED_PAD src0_sel:BYTE_0 src1_sel:DWORD
	v_lshlrev_b32_e32 v35, 3, v35
	s_clause 0x2
	global_load_dwordx4 v[51:54], v35, s[8:9] offset:216
	global_load_dwordx4 v[55:58], v35, s[8:9] offset:232
	global_load_dwordx2 v[61:62], v35, s[8:9] offset:248
	v_cndmask_b32_e64 v35, 0, 0x2d0, s2
	s_waitcnt vmcnt(0) lgkmcnt(0)
	s_barrier
	buffer_gl0_inv
	v_add_nc_u32_e32 v35, 0, v35
	v_add3_u32 v37, v35, v33, v0
	v_mul_f32_e32 v33, v23, v44
	v_mul_f32_e32 v35, v24, v46
	;; [unrolled: 1-line block ×10, first 2 shown]
	v_fma_f32 v33, v17, v43, -v33
	v_fma_f32 v44, v18, v45, -v35
	v_fmac_f32_e32 v42, v24, v45
	v_fma_f32 v13, v13, v47, -v46
	v_fma_f32 v45, v14, v49, -v48
	;; [unrolled: 1-line block ×3, first 2 shown]
	v_fmac_f32_e32 v40, v23, v43
	v_fmac_f32_e32 v41, v21, v47
	;; [unrolled: 1-line block ×4, first 2 shown]
	v_add_f32_e32 v17, v25, v44
	v_add_f32_e32 v22, v44, v45
	;; [unrolled: 1-line block ×4, first 2 shown]
	v_mul_f32_e32 v48, v16, v52
	v_mul_f32_e32 v18, v10, v52
	;; [unrolled: 1-line block ×9, first 2 shown]
	v_add_f32_e32 v46, v41, v39
	v_sub_f32_e32 v13, v13, v14
	v_mul_f32_e32 v24, v5, v58
	v_add_f32_e32 v17, v17, v45
	v_fmac_f32_e32 v25, -0.5, v22
	v_add_f32_e32 v14, v35, v14
	v_fmac_f32_e32 v33, -0.5, v43
	v_fma_f32 v22, v10, v51, -v48
	v_fma_f32 v43, v11, v53, -v49
	v_fmac_f32_e32 v27, v19, v53
	v_fma_f32 v10, v12, v55, -v50
	v_fmac_f32_e32 v23, v20, v55
	v_fma_f32 v19, v5, v57, -v52
	v_fma_f32 v5, v6, v61, -v54
	v_fmac_f32_e32 v21, v8, v61
	v_sub_f32_e32 v28, v42, v38
	v_fma_f32 v46, -0.5, v46, v40
	v_fmac_f32_e32 v18, v16, v51
	v_fmac_f32_e32 v24, v7, v57
	v_add_f32_e32 v16, v17, v14
	v_sub_f32_e32 v17, v17, v14
	v_add_f32_e32 v7, v9, v43
	v_add_f32_e32 v12, v10, v5
	;; [unrolled: 1-line block ×3, first 2 shown]
	v_sub_f32_e32 v47, v41, v39
	v_fmamk_f32 v6, v28, 0x3f5db3d7, v25
	v_fmac_f32_e32 v25, 0xbf5db3d7, v28
	v_fmamk_f32 v48, v13, 0xbf5db3d7, v46
	v_fmac_f32_e32 v46, 0x3f5db3d7, v13
	v_add_f32_e32 v8, v43, v19
	v_add_f32_e32 v11, v22, v10
	v_sub_f32_e32 v13, v23, v21
	v_sub_f32_e32 v28, v10, v5
	v_add_f32_e32 v10, v7, v19
	v_fmac_f32_e32 v22, -0.5, v12
	v_fma_f32 v7, -0.5, v14, v18
	v_fmamk_f32 v49, v47, 0x3f5db3d7, v33
	v_fmac_f32_e32 v33, 0xbf5db3d7, v47
	v_fmac_f32_e32 v9, -0.5, v8
	v_fmamk_f32 v47, v13, 0x3f5db3d7, v22
	v_fmamk_f32 v8, v28, 0xbf5db3d7, v7
	v_fmac_f32_e32 v22, 0xbf5db3d7, v13
	v_sub_f32_e32 v20, v27, v24
	v_mul_f32_e32 v35, 0x3f5db3d7, v48
	v_fmac_f32_e32 v7, 0x3f5db3d7, v28
	v_mul_f32_e32 v14, 0x3f5db3d7, v8
	v_mul_f32_e32 v13, -0.5, v22
	v_mul_f32_e32 v50, -0.5, v33
	v_add_f32_e32 v11, v11, v5
	v_fmac_f32_e32 v35, 0.5, v49
	v_fmamk_f32 v12, v20, 0x3f5db3d7, v9
	v_fmac_f32_e32 v9, 0xbf5db3d7, v20
	v_fmac_f32_e32 v14, 0.5, v47
	v_fmac_f32_e32 v13, 0x3f5db3d7, v7
	v_fmac_f32_e32 v50, 0x3f5db3d7, v46
	v_sub_f32_e32 v5, v10, v11
	v_add_f32_e32 v51, v6, v35
	v_sub_f32_e32 v35, v6, v35
	v_sub_f32_e32 v6, v12, v14
	;; [unrolled: 1-line block ×3, first 2 shown]
	v_and_b32_e32 v20, 0xffff, v63
	v_add_f32_e32 v52, v25, v50
	v_sub_f32_e32 v25, v25, v50
	ds_write2_b32 v37, v16, v51 offset1:30
	ds_write2_b32 v37, v52, v17 offset0:60 offset1:90
	ds_write2_b32 v37, v35, v25 offset0:120 offset1:150
	s_and_saveexec_b32 s2, s1
	s_cbranch_execz .LBB0_25
; %bb.24:
	v_mov_b32_e32 v16, 2
	v_mad_u32_u24 v17, 0x2d0, v20, 0
	v_add_f32_e32 v12, v12, v14
	v_add_f32_e32 v10, v10, v11
	v_add_f32_e32 v9, v9, v13
	v_lshlrev_b32_sdwa v16, v16, v36 dst_sel:DWORD dst_unused:UNUSED_PAD src0_sel:DWORD src1_sel:BYTE_0
	v_add3_u32 v11, v17, v16, v0
	ds_write2_b32 v11, v10, v12 offset1:30
	ds_write2_b32 v11, v9, v5 offset0:60 offset1:90
	ds_write2_b32 v11, v6, v28 offset0:120 offset1:150
.LBB0_25:
	s_or_b32 exec_lo, exec_lo, s2
	v_add_nc_u32_e32 v13, 0x400, v31
	s_waitcnt lgkmcnt(0)
	s_barrier
	buffer_gl0_inv
	ds_read_b32 v35, v32
	ds_read2_b32 v[11:12], v31 offset0:180 offset1:234
	ds_read2_b32 v[16:17], v13 offset0:32 offset1:104
	;; [unrolled: 1-line block ×4, first 2 shown]
	s_and_saveexec_b32 s2, vcc_lo
	s_cbranch_execz .LBB0_27
; %bb.26:
	v_add_nc_u32_e32 v5, 0x200, v31
	ds_read2_b32 v[5:6], v5 offset0:34 offset1:214
	ds_read_b32 v28, v31 offset:2088
.LBB0_27:
	s_or_b32 exec_lo, exec_lo, s2
	v_add_f32_e32 v25, v42, v38
	v_add_f32_e32 v42, v26, v42
	v_sub_f32_e32 v44, v44, v45
	v_add_f32_e32 v40, v40, v41
	v_mul_f32_e32 v41, 0xbf5db3d7, v49
	v_fmac_f32_e32 v26, -0.5, v25
	v_mul_f32_e32 v25, -0.5, v46
	v_add_f32_e32 v38, v42, v38
	v_add_f32_e32 v39, v40, v39
	v_fmac_f32_e32 v41, 0.5, v48
	v_fmamk_f32 v40, v44, 0xbf5db3d7, v26
	v_fmac_f32_e32 v25, 0xbf5db3d7, v33
	v_add_f32_e32 v33, v27, v24
	v_add_f32_e32 v27, v15, v27
	v_fmac_f32_e32 v26, 0x3f5db3d7, v44
	v_add_f32_e32 v42, v38, v39
	v_add_f32_e32 v44, v40, v41
	v_fmac_f32_e32 v15, -0.5, v33
	v_sub_f32_e32 v33, v43, v19
	v_add_f32_e32 v19, v27, v24
	v_add_f32_e32 v27, v18, v23
	v_mul_f32_e32 v18, 0xbf5db3d7, v47
	v_mul_f32_e32 v23, -0.5, v7
	v_fmamk_f32 v24, v33, 0xbf5db3d7, v15
	v_fmac_f32_e32 v15, 0x3f5db3d7, v33
	v_add_f32_e32 v21, v27, v21
	v_fmac_f32_e32 v18, 0.5, v8
	v_fmac_f32_e32 v23, 0xbf5db3d7, v22
	v_add_f32_e32 v45, v26, v25
	v_sub_f32_e32 v38, v38, v39
	v_sub_f32_e32 v7, v19, v21
	;; [unrolled: 1-line block ×6, first 2 shown]
	s_waitcnt lgkmcnt(0)
	s_barrier
	buffer_gl0_inv
	ds_write2_b32 v37, v42, v44 offset1:30
	ds_write2_b32 v37, v45, v38 offset0:60 offset1:90
	ds_write2_b32 v37, v22, v25 offset0:120 offset1:150
	s_and_saveexec_b32 s2, s1
	s_cbranch_execz .LBB0_29
; %bb.28:
	v_mov_b32_e32 v22, 2
	v_mad_u32_u24 v20, 0x2d0, v20, 0
	v_add_f32_e32 v19, v19, v21
	v_add_f32_e32 v18, v24, v18
	;; [unrolled: 1-line block ×3, first 2 shown]
	v_lshlrev_b32_sdwa v22, v22, v36 dst_sel:DWORD dst_unused:UNUSED_PAD src0_sel:DWORD src1_sel:BYTE_0
	v_add3_u32 v0, v20, v22, v0
	ds_write2_b32 v0, v19, v18 offset1:30
	ds_write2_b32 v0, v15, v7 offset0:60 offset1:90
	ds_write2_b32 v0, v8, v33 offset0:120 offset1:150
.LBB0_29:
	s_or_b32 exec_lo, exec_lo, s2
	v_add_nc_u32_e32 v0, 0x400, v31
	s_waitcnt lgkmcnt(0)
	s_barrier
	buffer_gl0_inv
	ds_read_b32 v15, v32
	ds_read2_b32 v[22:23], v31 offset0:180 offset1:234
	ds_read2_b32 v[26:27], v0 offset0:32 offset1:104
	;; [unrolled: 1-line block ×4, first 2 shown]
	s_and_saveexec_b32 s1, vcc_lo
	s_cbranch_execz .LBB0_31
; %bb.30:
	v_add_nc_u32_e32 v0, 0x200, v31
	ds_read2_b32 v[7:8], v0 offset0:34 offset1:214
	ds_read_b32 v33, v31 offset:2088
.LBB0_31:
	s_or_b32 exec_lo, exec_lo, s1
	s_and_saveexec_b32 s1, s0
	s_cbranch_execz .LBB0_34
; %bb.32:
	v_lshlrev_b32_e32 v31, 1, v34
	v_mov_b32_e32 v19, 0
	v_add_nc_u32_e32 v48, 0x6c, v34
	v_lshrrev_b32_e32 v0, 2, v34
	v_add_nc_u32_e32 v18, 0xd8, v31
	v_mov_b32_e32 v32, v19
	v_lshrrev_b32_e32 v50, 2, v48
	v_mul_hi_u32 v49, 0x16c16c17, v0
	v_add_nc_u32_e32 v0, 0xa2, v34
	v_lshlrev_b64 v[36:37], 3, v[18:19]
	v_lshlrev_b64 v[31:32], 3, v[31:32]
	v_lshlrev_b32_e32 v18, 1, v29
	v_mul_lo_u32 v29, s5, v3
	v_lshrrev_b32_e32 v49, 2, v49
	v_add_co_u32 v36, s0, s8, v36
	v_add_co_ci_u32_e64 v37, s0, s9, v37, s0
	v_add_co_u32 v31, s0, s8, v31
	v_lshlrev_b64 v[44:45], 3, v[18:19]
	v_add_co_ci_u32_e64 v32, s0, s9, v32, s0
	s_clause 0x1
	global_load_dwordx4 v[36:39], v[36:37], off offset:1416
	global_load_dwordx4 v[40:43], v[31:32], off offset:1416
	v_add_co_u32 v31, s0, s8, v44
	v_add_co_ci_u32_e64 v32, s0, s9, v45, s0
	v_add_nc_u32_e32 v18, 54, v34
	v_cmp_gt_u32_e64 s0, 0xb4, v0
	global_load_dwordx4 v[44:47], v[31:32], off offset:1416
	v_mul_lo_u32 v31, s4, v4
	v_lshrrev_b32_e32 v32, 2, v18
	v_mad_u64_u32 v[3:4], null, s4, v3, 0
	v_mul_hi_u32 v32, 0x16c16c17, v32
	v_add3_u32 v4, v4, v31, v29
	v_mul_hi_u32 v29, 0x16c16c17, v50
	v_lshrrev_b32_e32 v50, 2, v32
	v_lshlrev_b64 v[31:32], 3, v[1:2]
	v_lshlrev_b64 v[1:2], 3, v[3:4]
	v_mul_lo_u32 v3, 0xb4, v49
	v_lshrrev_b32_e32 v29, 2, v29
	v_mul_lo_u32 v4, 0xb4, v50
	v_add_co_u32 v49, s1, s14, v1
	v_mul_lo_u32 v52, 0xb4, v29
	v_add_co_ci_u32_e64 v51, s1, s15, v2, s1
	v_add_co_u32 v2, s1, v49, v31
	v_sub_nc_u32_e32 v1, v18, v4
	v_sub_nc_u32_e32 v53, v34, v3
	v_add_co_ci_u32_e64 v3, s1, v51, v32, s1
	v_sub_nc_u32_e32 v4, v48, v52
	v_mad_u64_u32 v[31:32], null, 0x21c, v50, v[1:2]
	v_lshlrev_b32_e32 v18, 3, v53
	v_mov_b32_e32 v32, v19
	v_mad_u64_u32 v[50:51], null, 0x21c, v29, v[4:5]
	v_mov_b32_e32 v51, v19
	v_add_co_u32 v48, s1, v2, v18
	v_add_co_ci_u32_e64 v49, s1, 0, v3, s1
	v_lshlrev_b64 v[52:53], 3, v[31:32]
	v_add_nc_u32_e32 v18, 0xb4, v31
	v_add_co_u32 v54, s1, 0x800, v48
	v_lshlrev_b64 v[56:57], 3, v[50:51]
	v_add_co_ci_u32_e64 v55, s1, 0, v49, s1
	v_lshlrev_b64 v[58:59], 3, v[18:19]
	v_add_nc_u32_e32 v18, 0x168, v31
	v_add_co_u32 v31, s1, v2, v52
	v_add_co_ci_u32_e64 v32, s1, v3, v53, s1
	v_add_co_u32 v51, s1, v2, v56
	v_add_co_ci_u32_e64 v52, s1, v3, v57, s1
	v_lshlrev_b64 v[56:57], 3, v[18:19]
	v_add_nc_u32_e32 v18, 0xb4, v50
	v_add_co_u32 v58, s1, v2, v58
	v_add_co_ci_u32_e64 v59, s1, v3, v59, s1
	v_lshlrev_b64 v[60:61], 3, v[18:19]
	v_add_nc_u32_e32 v18, 0x168, v50
	v_add_co_u32 v56, s1, v2, v56
	v_add_co_ci_u32_e64 v57, s1, v3, v57, s1
	v_lshlrev_b64 v[62:63], 3, v[18:19]
	v_add_co_u32 v60, s1, v2, v60
	v_add_co_ci_u32_e64 v61, s1, v3, v61, s1
	v_add_co_u32 v62, s1, v2, v62
	v_add_co_ci_u32_e64 v63, s1, v3, v63, s1
	s_waitcnt vmcnt(2) lgkmcnt(0)
	v_mul_f32_e32 v4, v25, v39
	v_mul_f32_e32 v1, v26, v37
	;; [unrolled: 1-line block ×4, first 2 shown]
	s_waitcnt vmcnt(1)
	v_mul_f32_e32 v37, v22, v41
	v_mul_f32_e32 v39, v27, v43
	;; [unrolled: 1-line block ×3, first 2 shown]
	v_fma_f32 v4, v14, v38, -v4
	v_mul_f32_e32 v14, v17, v43
	v_fma_f32 v1, v16, v36, -v1
	v_fmac_f32_e32 v18, v26, v36
	v_fmac_f32_e32 v29, v25, v38
	s_waitcnt vmcnt(0)
	v_mul_f32_e32 v16, v23, v45
	v_mul_f32_e32 v25, v24, v47
	;; [unrolled: 1-line block ×4, first 2 shown]
	v_fma_f32 v36, v17, v42, -v39
	v_fma_f32 v11, v11, v40, -v37
	v_fmac_f32_e32 v41, v22, v40
	v_fmac_f32_e32 v14, v27, v42
	v_sub_f32_e32 v27, v1, v4
	v_add_f32_e32 v37, v1, v4
	v_add_f32_e32 v1, v10, v1
	v_fma_f32 v16, v12, v44, -v16
	v_fma_f32 v25, v13, v46, -v25
	v_fmac_f32_e32 v26, v23, v44
	v_fmac_f32_e32 v38, v24, v46
	v_add_f32_e32 v17, v18, v29
	v_add_f32_e32 v23, v41, v14
	;; [unrolled: 1-line block ×5, first 2 shown]
	v_fma_f32 v10, -0.5, v37, v10
	v_add_f32_e32 v12, v1, v4
	v_add_f32_e32 v4, v26, v38
	;; [unrolled: 1-line block ×4, first 2 shown]
	v_sub_f32_e32 v39, v11, v36
	v_sub_f32_e32 v41, v41, v14
	v_fma_f32 v11, -0.5, v17, v21
	v_fma_f32 v15, -0.5, v23, v15
	v_add_f32_e32 v17, v24, v14
	v_fma_f32 v14, -0.5, v40, v35
	v_sub_f32_e32 v18, v18, v29
	v_add_f32_e32 v13, v22, v29
	v_add_f32_e32 v29, v20, v26
	;; [unrolled: 1-line block ×3, first 2 shown]
	v_sub_f32_e32 v1, v16, v25
	v_sub_f32_e32 v43, v26, v38
	v_fma_f32 v24, -0.5, v4, v20
	v_fma_f32 v23, -0.5, v37, v9
	v_add_f32_e32 v16, v42, v36
	v_fmamk_f32 v36, v39, 0x3f5db3d7, v15
	v_fmac_f32_e32 v15, 0xbf5db3d7, v39
	v_fmamk_f32 v35, v41, 0xbf5db3d7, v14
	v_fmac_f32_e32 v14, 0x3f5db3d7, v41
	v_add_f32_e32 v26, v29, v38
	v_add_f32_e32 v25, v44, v25
	v_fmamk_f32 v38, v1, 0x3f5db3d7, v24
	v_fmac_f32_e32 v24, 0xbf5db3d7, v1
	v_fmamk_f32 v37, v43, 0xbf5db3d7, v23
	v_fmac_f32_e32 v23, 0x3f5db3d7, v43
	v_fmamk_f32 v22, v27, 0x3f5db3d7, v11
	v_fmac_f32_e32 v11, 0xbf5db3d7, v27
	v_fmamk_f32 v21, v18, 0xbf5db3d7, v10
	v_fmac_f32_e32 v10, 0x3f5db3d7, v18
	global_store_dwordx2 v[48:49], v[16:17], off
	global_store_dwordx2 v[48:49], v[14:15], off offset:1440
	global_store_dwordx2 v[54:55], v[35:36], off offset:832
	global_store_dwordx2 v[31:32], v[25:26], off
	global_store_dwordx2 v[58:59], v[23:24], off
	global_store_dwordx2 v[56:57], v[37:38], off
	global_store_dwordx2 v[51:52], v[12:13], off
	global_store_dwordx2 v[60:61], v[10:11], off
	global_store_dwordx2 v[62:63], v[21:22], off
	s_and_b32 exec_lo, exec_lo, s0
	s_cbranch_execz .LBB0_34
; %bb.33:
	v_subrev_nc_u32_e32 v1, 18, v34
	v_cndmask_b32_e32 v1, v1, v30, vcc_lo
	v_lshlrev_b32_e32 v18, 1, v1
	v_mov_b32_e32 v1, v19
	v_lshlrev_b64 v[9:10], 3, v[18:19]
	v_add_nc_u32_e32 v18, 0x156, v34
	v_lshlrev_b64 v[0:1], 3, v[0:1]
	v_lshlrev_b64 v[13:14], 3, v[18:19]
	v_add_co_u32 v9, vcc_lo, s8, v9
	v_add_co_ci_u32_e32 v10, vcc_lo, s9, v10, vcc_lo
	v_add_nc_u32_e32 v18, 0x20a, v34
	v_add_co_u32 v0, vcc_lo, v2, v0
	global_load_dwordx4 v[9:12], v[9:10], off offset:1416
	v_add_co_ci_u32_e32 v1, vcc_lo, v3, v1, vcc_lo
	s_waitcnt vmcnt(0)
	v_mul_f32_e32 v4, v8, v10
	v_mul_f32_e32 v10, v6, v10
	;; [unrolled: 1-line block ×4, first 2 shown]
	v_fma_f32 v4, v6, v9, -v4
	v_fmac_f32_e32 v10, v8, v9
	v_fma_f32 v6, v28, v11, -v15
	v_fmac_f32_e32 v12, v33, v11
	v_lshlrev_b64 v[8:9], 3, v[18:19]
	v_add_f32_e32 v15, v5, v4
	v_add_f32_e32 v18, v7, v10
	;; [unrolled: 1-line block ×4, first 2 shown]
	v_sub_f32_e32 v4, v4, v6
	v_sub_f32_e32 v17, v10, v12
	v_add_f32_e32 v10, v15, v6
	v_fmac_f32_e32 v5, -0.5, v11
	v_fmac_f32_e32 v7, -0.5, v16
	v_add_f32_e32 v11, v18, v12
	v_add_co_u32 v12, vcc_lo, v2, v13
	v_add_co_ci_u32_e32 v13, vcc_lo, v3, v14, vcc_lo
	v_fmamk_f32 v16, v4, 0xbf5db3d7, v7
	v_fmac_f32_e32 v7, 0x3f5db3d7, v4
	v_add_co_u32 v2, vcc_lo, v2, v8
	v_fmamk_f32 v15, v17, 0x3f5db3d7, v5
	v_fmac_f32_e32 v5, 0xbf5db3d7, v17
	v_add_co_ci_u32_e32 v3, vcc_lo, v3, v9, vcc_lo
	v_mov_b32_e32 v6, v7
	global_store_dwordx2 v[0:1], v[10:11], off
	global_store_dwordx2 v[12:13], v[15:16], off
	;; [unrolled: 1-line block ×3, first 2 shown]
.LBB0_34:
	s_endpgm
	.section	.rodata,"a",@progbits
	.p2align	6, 0x0
	.amdhsa_kernel fft_rtc_fwd_len540_factors_3_10_6_3_wgs_216_tpt_54_halfLds_sp_op_CI_CI_unitstride_sbrr_dirReg
		.amdhsa_group_segment_fixed_size 0
		.amdhsa_private_segment_fixed_size 0
		.amdhsa_kernarg_size 104
		.amdhsa_user_sgpr_count 6
		.amdhsa_user_sgpr_private_segment_buffer 1
		.amdhsa_user_sgpr_dispatch_ptr 0
		.amdhsa_user_sgpr_queue_ptr 0
		.amdhsa_user_sgpr_kernarg_segment_ptr 1
		.amdhsa_user_sgpr_dispatch_id 0
		.amdhsa_user_sgpr_flat_scratch_init 0
		.amdhsa_user_sgpr_private_segment_size 0
		.amdhsa_wavefront_size32 1
		.amdhsa_uses_dynamic_stack 0
		.amdhsa_system_sgpr_private_segment_wavefront_offset 0
		.amdhsa_system_sgpr_workgroup_id_x 1
		.amdhsa_system_sgpr_workgroup_id_y 0
		.amdhsa_system_sgpr_workgroup_id_z 0
		.amdhsa_system_sgpr_workgroup_info 0
		.amdhsa_system_vgpr_workitem_id 0
		.amdhsa_next_free_vgpr 67
		.amdhsa_next_free_sgpr 27
		.amdhsa_reserve_vcc 1
		.amdhsa_reserve_flat_scratch 0
		.amdhsa_float_round_mode_32 0
		.amdhsa_float_round_mode_16_64 0
		.amdhsa_float_denorm_mode_32 3
		.amdhsa_float_denorm_mode_16_64 3
		.amdhsa_dx10_clamp 1
		.amdhsa_ieee_mode 1
		.amdhsa_fp16_overflow 0
		.amdhsa_workgroup_processor_mode 1
		.amdhsa_memory_ordered 1
		.amdhsa_forward_progress 0
		.amdhsa_shared_vgpr_count 0
		.amdhsa_exception_fp_ieee_invalid_op 0
		.amdhsa_exception_fp_denorm_src 0
		.amdhsa_exception_fp_ieee_div_zero 0
		.amdhsa_exception_fp_ieee_overflow 0
		.amdhsa_exception_fp_ieee_underflow 0
		.amdhsa_exception_fp_ieee_inexact 0
		.amdhsa_exception_int_div_zero 0
	.end_amdhsa_kernel
	.text
.Lfunc_end0:
	.size	fft_rtc_fwd_len540_factors_3_10_6_3_wgs_216_tpt_54_halfLds_sp_op_CI_CI_unitstride_sbrr_dirReg, .Lfunc_end0-fft_rtc_fwd_len540_factors_3_10_6_3_wgs_216_tpt_54_halfLds_sp_op_CI_CI_unitstride_sbrr_dirReg
                                        ; -- End function
	.section	.AMDGPU.csdata,"",@progbits
; Kernel info:
; codeLenInByte = 6336
; NumSgprs: 29
; NumVgprs: 67
; ScratchSize: 0
; MemoryBound: 0
; FloatMode: 240
; IeeeMode: 1
; LDSByteSize: 0 bytes/workgroup (compile time only)
; SGPRBlocks: 3
; VGPRBlocks: 8
; NumSGPRsForWavesPerEU: 29
; NumVGPRsForWavesPerEU: 67
; Occupancy: 12
; WaveLimiterHint : 1
; COMPUTE_PGM_RSRC2:SCRATCH_EN: 0
; COMPUTE_PGM_RSRC2:USER_SGPR: 6
; COMPUTE_PGM_RSRC2:TRAP_HANDLER: 0
; COMPUTE_PGM_RSRC2:TGID_X_EN: 1
; COMPUTE_PGM_RSRC2:TGID_Y_EN: 0
; COMPUTE_PGM_RSRC2:TGID_Z_EN: 0
; COMPUTE_PGM_RSRC2:TIDIG_COMP_CNT: 0
	.text
	.p2alignl 6, 3214868480
	.fill 48, 4, 3214868480
	.type	__hip_cuid_167e25f7bc74e2c6,@object ; @__hip_cuid_167e25f7bc74e2c6
	.section	.bss,"aw",@nobits
	.globl	__hip_cuid_167e25f7bc74e2c6
__hip_cuid_167e25f7bc74e2c6:
	.byte	0                               ; 0x0
	.size	__hip_cuid_167e25f7bc74e2c6, 1

	.ident	"AMD clang version 19.0.0git (https://github.com/RadeonOpenCompute/llvm-project roc-6.4.0 25133 c7fe45cf4b819c5991fe208aaa96edf142730f1d)"
	.section	".note.GNU-stack","",@progbits
	.addrsig
	.addrsig_sym __hip_cuid_167e25f7bc74e2c6
	.amdgpu_metadata
---
amdhsa.kernels:
  - .args:
      - .actual_access:  read_only
        .address_space:  global
        .offset:         0
        .size:           8
        .value_kind:     global_buffer
      - .offset:         8
        .size:           8
        .value_kind:     by_value
      - .actual_access:  read_only
        .address_space:  global
        .offset:         16
        .size:           8
        .value_kind:     global_buffer
      - .actual_access:  read_only
        .address_space:  global
        .offset:         24
        .size:           8
        .value_kind:     global_buffer
      - .actual_access:  read_only
        .address_space:  global
        .offset:         32
        .size:           8
        .value_kind:     global_buffer
      - .offset:         40
        .size:           8
        .value_kind:     by_value
      - .actual_access:  read_only
        .address_space:  global
        .offset:         48
        .size:           8
        .value_kind:     global_buffer
      - .actual_access:  read_only
        .address_space:  global
        .offset:         56
        .size:           8
        .value_kind:     global_buffer
      - .offset:         64
        .size:           4
        .value_kind:     by_value
      - .actual_access:  read_only
        .address_space:  global
        .offset:         72
        .size:           8
        .value_kind:     global_buffer
      - .actual_access:  read_only
        .address_space:  global
        .offset:         80
        .size:           8
        .value_kind:     global_buffer
      - .actual_access:  read_only
        .address_space:  global
        .offset:         88
        .size:           8
        .value_kind:     global_buffer
      - .actual_access:  write_only
        .address_space:  global
        .offset:         96
        .size:           8
        .value_kind:     global_buffer
    .group_segment_fixed_size: 0
    .kernarg_segment_align: 8
    .kernarg_segment_size: 104
    .language:       OpenCL C
    .language_version:
      - 2
      - 0
    .max_flat_workgroup_size: 216
    .name:           fft_rtc_fwd_len540_factors_3_10_6_3_wgs_216_tpt_54_halfLds_sp_op_CI_CI_unitstride_sbrr_dirReg
    .private_segment_fixed_size: 0
    .sgpr_count:     29
    .sgpr_spill_count: 0
    .symbol:         fft_rtc_fwd_len540_factors_3_10_6_3_wgs_216_tpt_54_halfLds_sp_op_CI_CI_unitstride_sbrr_dirReg.kd
    .uniform_work_group_size: 1
    .uses_dynamic_stack: false
    .vgpr_count:     67
    .vgpr_spill_count: 0
    .wavefront_size: 32
    .workgroup_processor_mode: 1
amdhsa.target:   amdgcn-amd-amdhsa--gfx1030
amdhsa.version:
  - 1
  - 2
...

	.end_amdgpu_metadata
